;; amdgpu-corpus repo=ROCm/rocFFT kind=compiled arch=gfx906 opt=O3
	.text
	.amdgcn_target "amdgcn-amd-amdhsa--gfx906"
	.amdhsa_code_object_version 6
	.protected	fft_rtc_fwd_len1134_factors_2_3_3_3_3_7_wgs_126_tpt_126_half_ip_CI_sbrr_dirReg ; -- Begin function fft_rtc_fwd_len1134_factors_2_3_3_3_3_7_wgs_126_tpt_126_half_ip_CI_sbrr_dirReg
	.globl	fft_rtc_fwd_len1134_factors_2_3_3_3_3_7_wgs_126_tpt_126_half_ip_CI_sbrr_dirReg
	.p2align	8
	.type	fft_rtc_fwd_len1134_factors_2_3_3_3_3_7_wgs_126_tpt_126_half_ip_CI_sbrr_dirReg,@function
fft_rtc_fwd_len1134_factors_2_3_3_3_3_7_wgs_126_tpt_126_half_ip_CI_sbrr_dirReg: ; @fft_rtc_fwd_len1134_factors_2_3_3_3_3_7_wgs_126_tpt_126_half_ip_CI_sbrr_dirReg
; %bb.0:
	s_load_dwordx2 s[14:15], s[4:5], 0x18
	s_load_dwordx4 s[8:11], s[4:5], 0x0
	s_load_dwordx2 s[12:13], s[4:5], 0x50
	v_mul_u32_u24_e32 v1, 0x209, v0
	v_add_u32_sdwa v5, s6, v1 dst_sel:DWORD dst_unused:UNUSED_PAD src0_sel:DWORD src1_sel:WORD_1
	s_waitcnt lgkmcnt(0)
	s_load_dwordx2 s[2:3], s[14:15], 0x0
	v_cmp_lt_u64_e64 s[0:1], s[10:11], 2
	v_mov_b32_e32 v3, 0
	v_mov_b32_e32 v1, 0
	;; [unrolled: 1-line block ×3, first 2 shown]
	s_and_b64 vcc, exec, s[0:1]
	v_mov_b32_e32 v2, 0
	s_cbranch_vccnz .LBB0_8
; %bb.1:
	s_load_dwordx2 s[0:1], s[4:5], 0x10
	s_add_u32 s6, s14, 8
	s_addc_u32 s7, s15, 0
	v_mov_b32_e32 v1, 0
	v_mov_b32_e32 v2, 0
	s_waitcnt lgkmcnt(0)
	s_add_u32 s16, s0, 8
	s_addc_u32 s17, s1, 0
	s_mov_b64 s[18:19], 1
.LBB0_2:                                ; =>This Inner Loop Header: Depth=1
	s_load_dwordx2 s[20:21], s[16:17], 0x0
                                        ; implicit-def: $vgpr7_vgpr8
	s_waitcnt lgkmcnt(0)
	v_or_b32_e32 v4, s21, v6
	v_cmp_ne_u64_e32 vcc, 0, v[3:4]
	s_and_saveexec_b64 s[0:1], vcc
	s_xor_b64 s[22:23], exec, s[0:1]
	s_cbranch_execz .LBB0_4
; %bb.3:                                ;   in Loop: Header=BB0_2 Depth=1
	v_cvt_f32_u32_e32 v4, s20
	v_cvt_f32_u32_e32 v7, s21
	s_sub_u32 s0, 0, s20
	s_subb_u32 s1, 0, s21
	v_mac_f32_e32 v4, 0x4f800000, v7
	v_rcp_f32_e32 v4, v4
	v_mul_f32_e32 v4, 0x5f7ffffc, v4
	v_mul_f32_e32 v7, 0x2f800000, v4
	v_trunc_f32_e32 v7, v7
	v_mac_f32_e32 v4, 0xcf800000, v7
	v_cvt_u32_f32_e32 v7, v7
	v_cvt_u32_f32_e32 v4, v4
	v_mul_lo_u32 v8, s0, v7
	v_mul_hi_u32 v9, s0, v4
	v_mul_lo_u32 v11, s1, v4
	v_mul_lo_u32 v10, s0, v4
	v_add_u32_e32 v8, v9, v8
	v_add_u32_e32 v8, v8, v11
	v_mul_hi_u32 v9, v4, v10
	v_mul_lo_u32 v11, v4, v8
	v_mul_hi_u32 v13, v4, v8
	v_mul_hi_u32 v12, v7, v10
	v_mul_lo_u32 v10, v7, v10
	v_mul_hi_u32 v14, v7, v8
	v_add_co_u32_e32 v9, vcc, v9, v11
	v_addc_co_u32_e32 v11, vcc, 0, v13, vcc
	v_mul_lo_u32 v8, v7, v8
	v_add_co_u32_e32 v9, vcc, v9, v10
	v_addc_co_u32_e32 v9, vcc, v11, v12, vcc
	v_addc_co_u32_e32 v10, vcc, 0, v14, vcc
	v_add_co_u32_e32 v8, vcc, v9, v8
	v_addc_co_u32_e32 v9, vcc, 0, v10, vcc
	v_add_co_u32_e32 v4, vcc, v4, v8
	v_addc_co_u32_e32 v7, vcc, v7, v9, vcc
	v_mul_lo_u32 v8, s0, v7
	v_mul_hi_u32 v9, s0, v4
	v_mul_lo_u32 v10, s1, v4
	v_mul_lo_u32 v11, s0, v4
	v_add_u32_e32 v8, v9, v8
	v_add_u32_e32 v8, v8, v10
	v_mul_lo_u32 v12, v4, v8
	v_mul_hi_u32 v13, v4, v11
	v_mul_hi_u32 v14, v4, v8
	;; [unrolled: 1-line block ×3, first 2 shown]
	v_mul_lo_u32 v11, v7, v11
	v_mul_hi_u32 v9, v7, v8
	v_add_co_u32_e32 v12, vcc, v13, v12
	v_addc_co_u32_e32 v13, vcc, 0, v14, vcc
	v_mul_lo_u32 v8, v7, v8
	v_add_co_u32_e32 v11, vcc, v12, v11
	v_addc_co_u32_e32 v10, vcc, v13, v10, vcc
	v_addc_co_u32_e32 v9, vcc, 0, v9, vcc
	v_add_co_u32_e32 v8, vcc, v10, v8
	v_addc_co_u32_e32 v9, vcc, 0, v9, vcc
	v_add_co_u32_e32 v4, vcc, v4, v8
	v_addc_co_u32_e32 v9, vcc, v7, v9, vcc
	v_mad_u64_u32 v[7:8], s[0:1], v5, v9, 0
	v_mul_hi_u32 v10, v5, v4
	v_add_co_u32_e32 v11, vcc, v10, v7
	v_addc_co_u32_e32 v12, vcc, 0, v8, vcc
	v_mad_u64_u32 v[7:8], s[0:1], v6, v4, 0
	v_mad_u64_u32 v[9:10], s[0:1], v6, v9, 0
	v_add_co_u32_e32 v4, vcc, v11, v7
	v_addc_co_u32_e32 v4, vcc, v12, v8, vcc
	v_addc_co_u32_e32 v7, vcc, 0, v10, vcc
	v_add_co_u32_e32 v4, vcc, v4, v9
	v_addc_co_u32_e32 v9, vcc, 0, v7, vcc
	v_mul_lo_u32 v10, s21, v4
	v_mul_lo_u32 v11, s20, v9
	v_mad_u64_u32 v[7:8], s[0:1], s20, v4, 0
	v_add3_u32 v8, v8, v11, v10
	v_sub_u32_e32 v10, v6, v8
	v_mov_b32_e32 v11, s21
	v_sub_co_u32_e32 v7, vcc, v5, v7
	v_subb_co_u32_e64 v10, s[0:1], v10, v11, vcc
	v_subrev_co_u32_e64 v11, s[0:1], s20, v7
	v_subbrev_co_u32_e64 v10, s[0:1], 0, v10, s[0:1]
	v_cmp_le_u32_e64 s[0:1], s21, v10
	v_cndmask_b32_e64 v12, 0, -1, s[0:1]
	v_cmp_le_u32_e64 s[0:1], s20, v11
	v_cndmask_b32_e64 v11, 0, -1, s[0:1]
	v_cmp_eq_u32_e64 s[0:1], s21, v10
	v_cndmask_b32_e64 v10, v12, v11, s[0:1]
	v_add_co_u32_e64 v11, s[0:1], 2, v4
	v_addc_co_u32_e64 v12, s[0:1], 0, v9, s[0:1]
	v_add_co_u32_e64 v13, s[0:1], 1, v4
	v_addc_co_u32_e64 v14, s[0:1], 0, v9, s[0:1]
	v_subb_co_u32_e32 v8, vcc, v6, v8, vcc
	v_cmp_ne_u32_e64 s[0:1], 0, v10
	v_cmp_le_u32_e32 vcc, s21, v8
	v_cndmask_b32_e64 v10, v14, v12, s[0:1]
	v_cndmask_b32_e64 v12, 0, -1, vcc
	v_cmp_le_u32_e32 vcc, s20, v7
	v_cndmask_b32_e64 v7, 0, -1, vcc
	v_cmp_eq_u32_e32 vcc, s21, v8
	v_cndmask_b32_e32 v7, v12, v7, vcc
	v_cmp_ne_u32_e32 vcc, 0, v7
	v_cndmask_b32_e64 v7, v13, v11, s[0:1]
	v_cndmask_b32_e32 v8, v9, v10, vcc
	v_cndmask_b32_e32 v7, v4, v7, vcc
.LBB0_4:                                ;   in Loop: Header=BB0_2 Depth=1
	s_andn2_saveexec_b64 s[0:1], s[22:23]
	s_cbranch_execz .LBB0_6
; %bb.5:                                ;   in Loop: Header=BB0_2 Depth=1
	v_cvt_f32_u32_e32 v4, s20
	s_sub_i32 s22, 0, s20
	v_rcp_iflag_f32_e32 v4, v4
	v_mul_f32_e32 v4, 0x4f7ffffe, v4
	v_cvt_u32_f32_e32 v4, v4
	v_mul_lo_u32 v7, s22, v4
	v_mul_hi_u32 v7, v4, v7
	v_add_u32_e32 v4, v4, v7
	v_mul_hi_u32 v4, v5, v4
	v_mul_lo_u32 v7, v4, s20
	v_add_u32_e32 v8, 1, v4
	v_sub_u32_e32 v7, v5, v7
	v_subrev_u32_e32 v9, s20, v7
	v_cmp_le_u32_e32 vcc, s20, v7
	v_cndmask_b32_e32 v7, v7, v9, vcc
	v_cndmask_b32_e32 v4, v4, v8, vcc
	v_add_u32_e32 v8, 1, v4
	v_cmp_le_u32_e32 vcc, s20, v7
	v_cndmask_b32_e32 v7, v4, v8, vcc
	v_mov_b32_e32 v8, v3
.LBB0_6:                                ;   in Loop: Header=BB0_2 Depth=1
	s_or_b64 exec, exec, s[0:1]
	v_mul_lo_u32 v4, v8, s20
	v_mul_lo_u32 v11, v7, s21
	v_mad_u64_u32 v[9:10], s[0:1], v7, s20, 0
	s_load_dwordx2 s[0:1], s[6:7], 0x0
	s_add_u32 s18, s18, 1
	v_add3_u32 v4, v10, v11, v4
	v_sub_co_u32_e32 v5, vcc, v5, v9
	v_subb_co_u32_e32 v4, vcc, v6, v4, vcc
	s_waitcnt lgkmcnt(0)
	v_mul_lo_u32 v4, s0, v4
	v_mul_lo_u32 v6, s1, v5
	v_mad_u64_u32 v[1:2], s[0:1], s0, v5, v[1:2]
	s_addc_u32 s19, s19, 0
	s_add_u32 s6, s6, 8
	v_add3_u32 v2, v6, v2, v4
	v_mov_b32_e32 v4, s10
	v_mov_b32_e32 v5, s11
	s_addc_u32 s7, s7, 0
	v_cmp_ge_u64_e32 vcc, s[18:19], v[4:5]
	s_add_u32 s16, s16, 8
	s_addc_u32 s17, s17, 0
	s_cbranch_vccnz .LBB0_9
; %bb.7:                                ;   in Loop: Header=BB0_2 Depth=1
	v_mov_b32_e32 v5, v7
	v_mov_b32_e32 v6, v8
	s_branch .LBB0_2
.LBB0_8:
	v_mov_b32_e32 v8, v6
	v_mov_b32_e32 v7, v5
.LBB0_9:
	s_lshl_b64 s[0:1], s[10:11], 3
	s_add_u32 s0, s14, s0
	s_addc_u32 s1, s15, s1
	s_load_dwordx2 s[6:7], s[0:1], 0x0
	s_load_dwordx2 s[10:11], s[4:5], 0x20
                                        ; implicit-def: $vgpr16
	s_waitcnt lgkmcnt(0)
	v_mad_u64_u32 v[1:2], s[0:1], s6, v7, v[1:2]
	s_mov_b32 s0, 0x2082083
	v_mul_lo_u32 v3, s6, v8
	v_mul_lo_u32 v4, s7, v7
	v_mul_hi_u32 v5, v0, s0
	v_cmp_gt_u64_e32 vcc, s[10:11], v[7:8]
	v_cmp_le_u64_e64 s[0:1], s[10:11], v[7:8]
	v_add3_u32 v2, v4, v2, v3
	v_mul_u32_u24_e32 v3, 0x7e, v5
	v_sub_u32_e32 v14, v0, v3
                                        ; implicit-def: $vgpr7
                                        ; implicit-def: $vgpr8
	s_and_saveexec_b64 s[4:5], s[0:1]
	s_xor_b64 s[0:1], exec, s[4:5]
; %bb.10:
	v_add_u32_e32 v16, 0x7e, v14
	v_add_u32_e32 v7, 0xfc, v14
	;; [unrolled: 1-line block ×3, first 2 shown]
; %bb.11:
	s_or_saveexec_b64 s[4:5], s[0:1]
	v_lshlrev_b64 v[0:1], 2, v[1:2]
	s_xor_b64 exec, exec, s[4:5]
	s_cbranch_execz .LBB0_13
; %bb.12:
	v_mad_u64_u32 v[2:3], s[0:1], s2, v14, 0
	v_add_u32_e32 v16, 0x7e, v14
	v_mov_b32_e32 v6, s13
	v_mad_u64_u32 v[3:4], s[0:1], s3, v14, v[3:4]
	v_mad_u64_u32 v[4:5], s[0:1], s2, v16, 0
	v_add_co_u32_e64 v15, s[0:1], s12, v0
	v_add_u32_e32 v7, 0xfc, v14
	v_addc_co_u32_e64 v28, s[0:1], v6, v1, s[0:1]
	v_mad_u64_u32 v[9:10], s[0:1], s2, v7, 0
	v_lshlrev_b64 v[2:3], 2, v[2:3]
	v_mad_u64_u32 v[5:6], s[0:1], s3, v16, v[5:6]
	v_add_co_u32_e64 v2, s[0:1], v15, v2
	v_mov_b32_e32 v6, v10
	v_addc_co_u32_e64 v3, s[0:1], v28, v3, s[0:1]
	v_mad_u64_u32 v[10:11], s[0:1], s3, v7, v[6:7]
	v_add_u32_e32 v8, 0x17a, v14
	v_mad_u64_u32 v[11:12], s[0:1], s2, v8, 0
	v_lshlrev_b64 v[4:5], 2, v[4:5]
	v_lshlrev_b64 v[9:10], 2, v[9:10]
	v_add_co_u32_e64 v4, s[0:1], v15, v4
	v_mov_b32_e32 v6, v12
	v_addc_co_u32_e64 v5, s[0:1], v28, v5, s[0:1]
	v_mad_u64_u32 v[12:13], s[0:1], s3, v8, v[6:7]
	v_add_u32_e32 v13, 0x1f8, v14
	v_mad_u64_u32 v[17:18], s[0:1], s2, v13, 0
	v_add_co_u32_e64 v9, s[0:1], v15, v9
	v_mov_b32_e32 v6, v18
	v_addc_co_u32_e64 v10, s[0:1], v28, v10, s[0:1]
	v_mad_u64_u32 v[18:19], s[0:1], s3, v13, v[6:7]
	v_add_u32_e32 v13, 0x276, v14
	v_mad_u64_u32 v[19:20], s[0:1], s2, v13, 0
	v_lshlrev_b64 v[11:12], 2, v[11:12]
	v_lshlrev_b64 v[17:18], 2, v[17:18]
	v_add_co_u32_e64 v11, s[0:1], v15, v11
	v_mov_b32_e32 v6, v20
	v_addc_co_u32_e64 v12, s[0:1], v28, v12, s[0:1]
	v_mad_u64_u32 v[20:21], s[0:1], s3, v13, v[6:7]
	v_add_u32_e32 v13, 0x2f4, v14
	v_mad_u64_u32 v[21:22], s[0:1], s2, v13, 0
	v_add_co_u32_e64 v17, s[0:1], v15, v17
	v_mov_b32_e32 v6, v22
	v_addc_co_u32_e64 v18, s[0:1], v28, v18, s[0:1]
	v_mad_u64_u32 v[22:23], s[0:1], s3, v13, v[6:7]
	v_add_u32_e32 v13, 0x372, v14
	v_mad_u64_u32 v[23:24], s[0:1], s2, v13, 0
	v_lshlrev_b64 v[19:20], 2, v[19:20]
	v_lshlrev_b64 v[21:22], 2, v[21:22]
	v_add_co_u32_e64 v19, s[0:1], v15, v19
	v_mov_b32_e32 v6, v24
	v_addc_co_u32_e64 v20, s[0:1], v28, v20, s[0:1]
	v_mad_u64_u32 v[24:25], s[0:1], s3, v13, v[6:7]
	v_add_co_u32_e64 v21, s[0:1], v15, v21
	v_add_u32_e32 v13, 0x3f0, v14
	v_addc_co_u32_e64 v22, s[0:1], v28, v22, s[0:1]
	v_mad_u64_u32 v[25:26], s[0:1], s2, v13, 0
	v_lshlrev_b64 v[23:24], 2, v[23:24]
	v_add_co_u32_e64 v23, s[0:1], v15, v23
	v_mov_b32_e32 v6, v26
	v_addc_co_u32_e64 v24, s[0:1], v28, v24, s[0:1]
	v_mad_u64_u32 v[26:27], s[0:1], s3, v13, v[6:7]
	global_load_dword v6, v[2:3], off
	global_load_dword v13, v[4:5], off
	;; [unrolled: 1-line block ×8, first 2 shown]
	v_lshlrev_b64 v[2:3], 2, v[25:26]
	v_add_co_u32_e64 v2, s[0:1], v15, v2
	v_addc_co_u32_e64 v3, s[0:1], v28, v3, s[0:1]
	global_load_dword v2, v[2:3], off
	v_lshl_add_u32 v3, v14, 2, 0
	v_add_u32_e32 v4, 0x200, v3
	s_waitcnt vmcnt(7)
	ds_write2_b32 v3, v6, v13 offset1:126
	s_waitcnt vmcnt(5)
	ds_write2_b32 v4, v27, v29 offset0:124 offset1:250
	v_add_u32_e32 v4, 0x600, v3
	s_waitcnt vmcnt(3)
	ds_write2_b32 v4, v30, v31 offset0:120 offset1:246
	v_add_u32_e32 v4, 0xa00, v3
	s_waitcnt vmcnt(1)
	ds_write2_b32 v4, v32, v33 offset0:116 offset1:242
	s_waitcnt vmcnt(0)
	ds_write_b32 v3, v2 offset:4032
.LBB0_13:
	s_or_b64 exec, exec, s[4:5]
	v_lshlrev_b32_e32 v12, 2, v14
	v_add_u32_e32 v15, 0, v12
	v_add_u32_e32 v2, 0x600, v15
	;; [unrolled: 1-line block ×3, first 2 shown]
	s_waitcnt lgkmcnt(0)
	s_barrier
	ds_read2_b32 v[4:5], v2 offset0:120 offset1:183
	ds_read2_b32 v[17:18], v3 offset0:49 offset1:175
	v_add_u32_e32 v10, 0x200, v15
	ds_read2_b32 v[22:23], v15 offset1:126
	v_add_u32_e32 v13, v15, v12
	v_lshl_add_u32 v6, v16, 3, 0
	s_waitcnt lgkmcnt(1)
	v_pk_add_f16 v3, v4, v18 neg_lo:[0,1] neg_hi:[0,1]
	ds_read2_b32 v[18:19], v10 offset0:124 offset1:250
	v_add_u32_e32 v10, 0xa00, v15
	ds_read2_b32 v[20:21], v10 offset0:53 offset1:179
	s_waitcnt lgkmcnt(2)
	v_pk_add_f16 v5, v22, v5 neg_lo:[0,1] neg_hi:[0,1]
	v_lshl_add_u32 v9, v7, 3, 0
	v_lshl_add_u32 v11, v8, 3, 0
	s_waitcnt lgkmcnt(1)
	v_pk_add_f16 v17, v19, v17 neg_lo:[0,1] neg_hi:[0,1]
	s_waitcnt lgkmcnt(0)
	v_pk_add_f16 v21, v18, v21 neg_lo:[0,1] neg_hi:[0,1]
	v_pk_add_f16 v20, v23, v20 neg_lo:[0,1] neg_hi:[0,1]
	v_pk_fma_f16 v22, v22, 2.0, v5 op_sel_hi:[1,0,1] neg_lo:[0,0,1] neg_hi:[0,0,1]
	v_cmp_gt_u32_e64 s[0:1], 63, v14
	v_pk_fma_f16 v19, v19, 2.0, v17 op_sel_hi:[1,0,1] neg_lo:[0,0,1] neg_hi:[0,0,1]
	v_pk_fma_f16 v18, v18, 2.0, v21 op_sel_hi:[1,0,1] neg_lo:[0,0,1] neg_hi:[0,0,1]
	;; [unrolled: 1-line block ×3, first 2 shown]
	s_barrier
	ds_write2_b32 v13, v22, v5 offset1:1
	ds_write2_b32 v6, v23, v20 offset1:1
	;; [unrolled: 1-line block ×4, first 2 shown]
	s_and_saveexec_b64 s[4:5], s[0:1]
	s_cbranch_execz .LBB0_15
; %bb.14:
	s_movk_i32 s0, 0xfc0
	v_pk_fma_f16 v4, v4, 2.0, v3 op_sel_hi:[1,0,1] neg_lo:[0,0,1] neg_hi:[0,0,1]
	v_add3_u32 v5, v15, v12, s0
	ds_write2_b32 v5, v4, v3 offset1:1
.LBB0_15:
	s_or_b64 exec, exec, s[4:5]
	v_and_b32_e32 v21, 1, v14
	v_lshlrev_b32_e32 v4, 3, v21
	s_waitcnt lgkmcnt(0)
	s_barrier
	global_load_dwordx2 v[12:13], v4, s[8:9]
	v_lshlrev_b32_e32 v22, 2, v7
	v_lshlrev_b32_e32 v5, 2, v8
	ds_read2_b32 v[17:18], v10 offset0:116 offset1:242
	v_lshlrev_b32_e32 v4, 2, v16
	v_lshrrev_b32_e32 v23, 1, v14
	v_sub_u32_e32 v9, v9, v22
	ds_read2_b32 v[19:20], v2 offset0:120 offset1:246
	v_sub_u32_e32 v5, v11, v5
	v_sub_u32_e32 v8, v6, v4
	v_mul_u32_u24_e32 v11, 6, v23
	ds_read_b32 v22, v9
	ds_read_b32 v23, v8
	;; [unrolled: 1-line block ×3, first 2 shown]
	ds_read_b32 v25, v15 offset:4032
	ds_read_b32 v26, v15
	s_waitcnt lgkmcnt(6)
	v_lshrrev_b32_e32 v27, 16, v17
	v_lshrrev_b32_e32 v29, 16, v18
	s_waitcnt lgkmcnt(5)
	v_lshrrev_b32_e32 v28, 16, v19
	s_waitcnt lgkmcnt(1)
	v_lshrrev_b32_e32 v30, 16, v25
	v_lshrrev_b32_e32 v31, 16, v24
	s_waitcnt lgkmcnt(0)
	v_lshrrev_b32_e32 v32, 16, v26
	s_movk_i32 s0, 0x3aee
	s_mov_b32 s1, 0xbaee
	v_lshrrev_b32_e32 v33, 16, v23
	v_or_b32_e32 v11, v11, v21
	v_lshl_add_u32 v11, v11, 2, 0
	s_waitcnt vmcnt(0)
	s_barrier
	s_movk_i32 s4, 0xab
	v_lshrrev_b32_e32 v34, 16, v12
	v_mul_f16_sdwa v35, v13, v27 dst_sel:DWORD dst_unused:UNUSED_PAD src0_sel:WORD_1 src1_sel:DWORD
	v_mul_f16_sdwa v36, v13, v17 dst_sel:DWORD dst_unused:UNUSED_PAD src0_sel:WORD_1 src1_sel:DWORD
	;; [unrolled: 1-line block ×4, first 2 shown]
	v_mul_f16_sdwa v39, v12, v20 dst_sel:DWORD dst_unused:UNUSED_PAD src0_sel:DWORD src1_sel:WORD_1
	v_mul_f16_sdwa v40, v13, v30 dst_sel:DWORD dst_unused:UNUSED_PAD src0_sel:WORD_1 src1_sel:DWORD
	v_mul_f16_sdwa v41, v13, v25 dst_sel:DWORD dst_unused:UNUSED_PAD src0_sel:WORD_1 src1_sel:DWORD
	v_fma_f16 v27, v13, v27, v36
	v_fma_f16 v17, v13, v17, -v35
	v_fma_f16 v18, v13, v18, -v37
	v_mul_f16_e32 v35, v34, v28
	v_mul_f16_e32 v36, v34, v19
	v_fma_f16 v29, v13, v29, v38
	v_mul_f16_sdwa v37, v34, v20 dst_sel:DWORD dst_unused:UNUSED_PAD src0_sel:DWORD src1_sel:WORD_1
	v_fma_f16 v38, v34, v20, v39
	v_fma_f16 v25, v13, v25, -v40
	v_fma_f16 v13, v13, v30, v41
	v_mul_f16_e32 v30, v34, v31
	v_mul_f16_e32 v34, v34, v24
	v_fma_f16 v24, v12, v24, -v30
	v_fma_f16 v30, v12, v31, v34
	v_fma_f16 v19, v12, v19, -v35
	v_fma_f16 v20, v12, v20, -v37
	v_fma_f16 v12, v12, v28, v36
	v_add_f16_e32 v28, v26, v24
	v_add_f16_e32 v31, v24, v17
	v_sub_f16_e32 v34, v30, v27
	v_add_f16_e32 v35, v32, v30
	v_add_f16_e32 v30, v30, v27
	v_sub_f16_e32 v24, v24, v17
	v_add_f16_e32 v17, v28, v17
	v_fma_f16 v26, v31, -0.5, v26
	v_add_f16_e32 v27, v35, v27
	v_fma_f16 v28, v30, -0.5, v32
	v_sub_f16_e32 v39, v12, v29
	v_add_f16_e32 v40, v33, v12
	v_add_f16_e32 v12, v12, v29
	v_pack_b32_f16 v17, v17, v27
	v_fma_f16 v27, v34, s0, v26
	v_fma_f16 v30, v24, s1, v28
	v_add_f16_e32 v36, v23, v19
	v_add_f16_e32 v37, v19, v18
	v_sub_f16_e32 v19, v19, v18
	v_fma_f16 v12, v12, -0.5, v33
	v_fma_f16 v26, v34, s1, v26
	v_fma_f16 v24, v24, s0, v28
	v_pack_b32_f16 v27, v27, v30
	v_fma_f16 v31, v19, s1, v12
	ds_write2_b32 v11, v17, v27 offset1:2
	v_fma_f16 v12, v19, s0, v12
	v_pack_b32_f16 v17, v26, v24
	v_add_f16_e32 v19, v20, v25
	v_fma_f16 v19, v19, -0.5, v22
	ds_write_b32 v11, v17 offset:16
	v_sub_f16_e32 v11, v38, v13
	v_fma_f16 v17, v11, s0, v19
	v_fma_f16 v11, v11, s1, v19
	v_lshrrev_b32_e32 v19, 16, v22
	v_add_f16_e32 v24, v19, v38
	v_add_f16_e32 v24, v24, v13
	v_add_f16_e32 v13, v38, v13
	v_fma_f16 v13, v13, -0.5, v19
	v_lshrrev_b32_e32 v19, 1, v16
	v_mul_lo_u32 v19, v19, 6
	v_lshrrev_b32_e32 v26, 1, v7
	v_mul_lo_u32 v26, v26, 6
	v_fma_f16 v23, v37, -0.5, v23
	v_fma_f16 v28, v39, s0, v23
	v_fma_f16 v23, v39, s1, v23
	v_or_b32_e32 v19, v19, v21
	v_add_f16_e32 v18, v36, v18
	v_add_f16_e32 v29, v40, v29
	;; [unrolled: 1-line block ×3, first 2 shown]
	v_sub_f16_e32 v20, v20, v25
	v_lshl_add_u32 v19, v19, 2, 0
	v_pack_b32_f16 v12, v23, v12
	v_add_f16_e32 v22, v22, v25
	v_fma_f16 v25, v20, s1, v13
	v_fma_f16 v13, v20, s0, v13
	v_pack_b32_f16 v18, v18, v29
	v_pack_b32_f16 v20, v28, v31
	ds_write_b32 v19, v12 offset:16
	v_or_b32_e32 v12, v26, v21
	ds_write2_b32 v19, v18, v20 offset1:2
	v_lshl_add_u32 v12, v12, 2, 0
	v_pack_b32_f16 v18, v22, v24
	v_pack_b32_f16 v17, v17, v25
	;; [unrolled: 1-line block ×3, first 2 shown]
	ds_write2_b32 v12, v18, v17 offset1:2
	ds_write_b32 v12, v11 offset:16
	v_mul_lo_u16_sdwa v11, v14, s4 dst_sel:DWORD dst_unused:UNUSED_PAD src0_sel:BYTE_0 src1_sel:DWORD
	v_mul_lo_u16_sdwa v12, v16, s4 dst_sel:DWORD dst_unused:UNUSED_PAD src0_sel:BYTE_0 src1_sel:DWORD
	v_lshrrev_b16_e32 v13, 10, v11
	v_lshrrev_b16_e32 v27, 10, v12
	v_mul_lo_u16_e32 v11, 6, v13
	v_mul_lo_u16_e32 v17, 6, v27
	v_sub_u16_e32 v25, v14, v11
	v_mov_b32_e32 v26, 3
	v_sub_u16_e32 v28, v16, v17
	s_mov_b32 s4, 0xaaab
	v_lshlrev_b32_sdwa v11, v26, v25 dst_sel:DWORD dst_unused:UNUSED_PAD src0_sel:DWORD src1_sel:BYTE_0
	v_lshlrev_b32_sdwa v17, v26, v28 dst_sel:DWORD dst_unused:UNUSED_PAD src0_sel:DWORD src1_sel:BYTE_0
	v_mul_u32_u24_sdwa v19, v7, s4 dst_sel:DWORD dst_unused:UNUSED_PAD src0_sel:WORD_0 src1_sel:DWORD
	s_waitcnt lgkmcnt(0)
	s_barrier
	global_load_dwordx2 v[11:12], v11, s[8:9] offset:16
	v_lshrrev_b32_e32 v29, 18, v19
	global_load_dwordx2 v[17:18], v17, s[8:9] offset:16
	v_mul_lo_u16_e32 v19, 6, v29
	v_sub_u16_e32 v30, v7, v19
	v_lshlrev_b32_e32 v19, 3, v30
	global_load_dwordx2 v[19:20], v19, s[8:9] offset:16
	ds_read2_b32 v[21:22], v10 offset0:116 offset1:242
	ds_read_b32 v31, v5
	ds_read_b32 v32, v8
	;; [unrolled: 1-line block ×3, first 2 shown]
	ds_read2_b32 v[23:24], v2 offset0:120 offset1:246
	ds_read_b32 v34, v15 offset:4032
	s_waitcnt lgkmcnt(4)
	v_lshrrev_b32_e32 v35, 16, v31
	v_lshrrev_b32_e32 v36, 16, v21
	;; [unrolled: 1-line block ×3, first 2 shown]
	v_mul_u32_u24_e32 v13, 0x48, v13
	s_mov_b32 s4, 0xe38f
	s_waitcnt vmcnt(2)
	v_mul_f16_sdwa v38, v11, v35 dst_sel:DWORD dst_unused:UNUSED_PAD src0_sel:WORD_1 src1_sel:DWORD
	v_mul_f16_sdwa v39, v11, v31 dst_sel:DWORD dst_unused:UNUSED_PAD src0_sel:WORD_1 src1_sel:DWORD
	;; [unrolled: 1-line block ×4, first 2 shown]
	s_waitcnt vmcnt(1)
	v_mul_f16_sdwa v42, v18, v37 dst_sel:DWORD dst_unused:UNUSED_PAD src0_sel:WORD_1 src1_sel:DWORD
	v_mul_f16_sdwa v43, v18, v22 dst_sel:DWORD dst_unused:UNUSED_PAD src0_sel:WORD_1 src1_sel:DWORD
	v_fma_f16 v31, v11, v31, -v38
	v_fma_f16 v11, v11, v35, v39
	v_fma_f16 v35, v12, v36, v40
	v_fma_f16 v12, v12, v21, -v41
	v_fma_f16 v21, v18, v22, -v42
	s_waitcnt lgkmcnt(1)
	v_lshrrev_b32_e32 v22, 16, v23
	v_mul_f16_sdwa v36, v17, v23 dst_sel:DWORD dst_unused:UNUSED_PAD src0_sel:WORD_1 src1_sel:DWORD
	v_fma_f16 v36, v17, v22, v36
	v_mul_f16_sdwa v22, v17, v22 dst_sel:DWORD dst_unused:UNUSED_PAD src0_sel:WORD_1 src1_sel:DWORD
	v_fma_f16 v17, v17, v23, -v22
	v_lshrrev_b32_e32 v22, 16, v24
	s_waitcnt vmcnt(0)
	v_mul_f16_sdwa v23, v19, v22 dst_sel:DWORD dst_unused:UNUSED_PAD src0_sel:WORD_1 src1_sel:DWORD
	v_fma_f16 v23, v19, v24, -v23
	v_mul_f16_sdwa v24, v19, v24 dst_sel:DWORD dst_unused:UNUSED_PAD src0_sel:WORD_1 src1_sel:DWORD
	v_fma_f16 v19, v19, v22, v24
	ds_read_b32 v22, v15
	s_waitcnt lgkmcnt(1)
	v_lshrrev_b32_e32 v24, 16, v34
	v_fma_f16 v18, v18, v37, v43
	v_mul_f16_sdwa v37, v24, v20 dst_sel:DWORD dst_unused:UNUSED_PAD src0_sel:DWORD src1_sel:WORD_1
	v_fma_f16 v37, v34, v20, -v37
	v_mul_f16_sdwa v34, v34, v20 dst_sel:DWORD dst_unused:UNUSED_PAD src0_sel:DWORD src1_sel:WORD_1
	v_fma_f16 v20, v24, v20, v34
	s_waitcnt lgkmcnt(0)
	v_lshrrev_b32_e32 v24, 16, v22
	v_add_f16_e32 v34, v24, v11
	v_sub_f16_e32 v38, v11, v35
	v_add_f16_e32 v11, v11, v35
	v_fma_f16 v11, v11, -0.5, v24
	v_add_f16_e32 v24, v31, v12
	v_fma_f16 v24, v24, -0.5, v22
	v_add_f16_e32 v22, v22, v31
	v_add_f16_e32 v22, v22, v12
	v_sub_f16_e32 v12, v31, v12
	v_mov_b32_e32 v31, 2
	v_add_f16_e32 v34, v34, v35
	v_lshlrev_b32_sdwa v25, v31, v25 dst_sel:DWORD dst_unused:UNUSED_PAD src0_sel:DWORD src1_sel:BYTE_0
	v_add3_u32 v13, 0, v13, v25
	v_pack_b32_f16 v22, v22, v34
	v_fma_f16 v25, v38, s0, v24
	v_fma_f16 v34, v12, s1, v11
	v_pack_b32_f16 v25, v25, v34
	s_barrier
	ds_write2_b32 v13, v22, v25 offset1:6
	v_fma_f16 v22, v38, s1, v24
	v_fma_f16 v11, v12, s0, v11
	v_pack_b32_f16 v11, v22, v11
	ds_write_b32 v13, v11 offset:48
	v_add_f16_e32 v11, v17, v21
	v_fma_f16 v11, v11, -0.5, v32
	v_sub_f16_e32 v12, v36, v18
	v_fma_f16 v13, v12, s0, v11
	v_fma_f16 v11, v12, s1, v11
	v_lshrrev_b32_e32 v12, 16, v32
	v_add_f16_e32 v22, v12, v36
	v_add_f16_e32 v22, v22, v18
	;; [unrolled: 1-line block ×3, first 2 shown]
	v_fma_f16 v12, v18, -0.5, v12
	v_add_f16_e32 v18, v32, v17
	v_sub_f16_e32 v17, v17, v21
	v_add_f16_e32 v18, v18, v21
	v_fma_f16 v21, v17, s1, v12
	v_fma_f16 v12, v17, s0, v12
	v_add_f16_e32 v17, v23, v37
	v_fma_f16 v17, v17, -0.5, v33
	v_sub_f16_e32 v24, v19, v20
	v_fma_f16 v25, v24, s0, v17
	v_fma_f16 v17, v24, s1, v17
	v_lshrrev_b32_e32 v24, 16, v33
	v_add_f16_e32 v32, v24, v19
	v_add_f16_e32 v19, v19, v20
	;; [unrolled: 1-line block ×3, first 2 shown]
	v_fma_f16 v19, v19, -0.5, v24
	v_add_f16_e32 v20, v33, v23
	v_sub_f16_e32 v23, v23, v37
	v_fma_f16 v24, v23, s1, v19
	v_fma_f16 v19, v23, s0, v19
	v_mul_u32_u24_e32 v23, 0x48, v27
	v_lshlrev_b32_sdwa v27, v31, v28 dst_sel:DWORD dst_unused:UNUSED_PAD src0_sel:DWORD src1_sel:BYTE_0
	v_add3_u32 v23, 0, v23, v27
	v_pack_b32_f16 v11, v11, v12
	v_add_f16_e32 v20, v20, v37
	v_pack_b32_f16 v18, v18, v22
	v_pack_b32_f16 v13, v13, v21
	ds_write_b32 v23, v11 offset:48
	v_mul_u32_u24_e32 v11, 0x48, v29
	v_lshlrev_b32_e32 v12, 2, v30
	ds_write2_b32 v23, v18, v13 offset1:6
	v_add3_u32 v11, 0, v11, v12
	v_pack_b32_f16 v12, v20, v32
	v_pack_b32_f16 v13, v25, v24
	ds_write2_b32 v11, v12, v13 offset1:6
	v_pack_b32_f16 v12, v17, v19
	v_mov_b32_e32 v13, 57
	ds_write_b32 v11, v12 offset:48
	v_mul_lo_u16_sdwa v11, v14, v13 dst_sel:DWORD dst_unused:UNUSED_PAD src0_sel:BYTE_0 src1_sel:DWORD
	v_lshrrev_b16_e32 v23, 10, v11
	v_mul_lo_u16_e32 v11, 18, v23
	v_sub_u16_e32 v24, v14, v11
	v_lshlrev_b32_sdwa v11, v26, v24 dst_sel:DWORD dst_unused:UNUSED_PAD src0_sel:DWORD src1_sel:BYTE_0
	s_waitcnt lgkmcnt(0)
	s_barrier
	global_load_dwordx2 v[11:12], v11, s[8:9] offset:64
	v_mul_lo_u16_sdwa v13, v16, v13 dst_sel:DWORD dst_unused:UNUSED_PAD src0_sel:BYTE_0 src1_sel:DWORD
	v_lshrrev_b16_e32 v13, 10, v13
	v_mul_lo_u16_e32 v17, 18, v13
	v_sub_u16_e32 v25, v16, v17
	v_lshlrev_b32_sdwa v17, v26, v25 dst_sel:DWORD dst_unused:UNUSED_PAD src0_sel:DWORD src1_sel:BYTE_0
	global_load_dwordx2 v[17:18], v17, s[8:9] offset:64
	v_mul_u32_u24_sdwa v19, v7, s4 dst_sel:DWORD dst_unused:UNUSED_PAD src0_sel:WORD_0 src1_sel:DWORD
	v_lshrrev_b32_e32 v27, 20, v19
	v_mul_lo_u16_e32 v19, 18, v27
	v_sub_u16_e32 v28, v7, v19
	v_lshlrev_b32_e32 v19, 3, v28
	global_load_dwordx2 v[19:20], v19, s[8:9] offset:64
	ds_read_b32 v29, v5
	ds_read_b32 v30, v8
	;; [unrolled: 1-line block ×3, first 2 shown]
	ds_read_b32 v33, v15 offset:4032
	ds_read2_b32 v[21:22], v10 offset0:116 offset1:242
	s_waitcnt lgkmcnt(4)
	v_lshrrev_b32_e32 v34, 16, v29
	v_mul_u32_u24_e32 v23, 0xd8, v23
	v_lshlrev_b32_sdwa v24, v31, v24 dst_sel:DWORD dst_unused:UNUSED_PAD src0_sel:DWORD src1_sel:BYTE_0
	v_add3_u32 v23, 0, v23, v24
	s_waitcnt lgkmcnt(0)
	v_lshrrev_b32_e32 v36, 16, v22
	v_mul_u32_u24_e32 v13, 0xd8, v13
	s_waitcnt vmcnt(2)
	v_mul_f16_sdwa v35, v11, v34 dst_sel:DWORD dst_unused:UNUSED_PAD src0_sel:WORD_1 src1_sel:DWORD
	v_fma_f16 v35, v11, v29, -v35
	v_mul_f16_sdwa v29, v11, v29 dst_sel:DWORD dst_unused:UNUSED_PAD src0_sel:WORD_1 src1_sel:DWORD
	v_fma_f16 v29, v11, v34, v29
	v_lshrrev_b32_e32 v11, 16, v21
	v_mul_f16_sdwa v34, v12, v21 dst_sel:DWORD dst_unused:UNUSED_PAD src0_sel:WORD_1 src1_sel:DWORD
	v_fma_f16 v34, v12, v11, v34
	v_mul_f16_sdwa v11, v12, v11 dst_sel:DWORD dst_unused:UNUSED_PAD src0_sel:WORD_1 src1_sel:DWORD
	v_fma_f16 v21, v12, v21, -v11
	ds_read2_b32 v[11:12], v2 offset0:120 offset1:246
	s_waitcnt vmcnt(1)
	v_mul_f16_sdwa v37, v18, v36 dst_sel:DWORD dst_unused:UNUSED_PAD src0_sel:WORD_1 src1_sel:DWORD
	v_fma_f16 v37, v18, v22, -v37
	v_mul_f16_sdwa v22, v18, v22 dst_sel:DWORD dst_unused:UNUSED_PAD src0_sel:WORD_1 src1_sel:DWORD
	v_fma_f16 v18, v18, v36, v22
	s_waitcnt lgkmcnt(0)
	v_lshrrev_b32_e32 v22, 16, v11
	v_mul_f16_sdwa v36, v17, v11 dst_sel:DWORD dst_unused:UNUSED_PAD src0_sel:WORD_1 src1_sel:DWORD
	v_fma_f16 v36, v17, v22, v36
	v_mul_f16_sdwa v22, v17, v22 dst_sel:DWORD dst_unused:UNUSED_PAD src0_sel:WORD_1 src1_sel:DWORD
	v_fma_f16 v11, v17, v11, -v22
	v_lshrrev_b32_e32 v17, 16, v12
	s_waitcnt vmcnt(0)
	v_mul_f16_sdwa v22, v19, v17 dst_sel:DWORD dst_unused:UNUSED_PAD src0_sel:WORD_1 src1_sel:DWORD
	v_fma_f16 v22, v19, v12, -v22
	v_mul_f16_sdwa v12, v19, v12 dst_sel:DWORD dst_unused:UNUSED_PAD src0_sel:WORD_1 src1_sel:DWORD
	v_fma_f16 v12, v19, v17, v12
	ds_read_b32 v17, v15
	v_lshrrev_b32_e32 v19, 16, v33
	v_mul_f16_sdwa v38, v19, v20 dst_sel:DWORD dst_unused:UNUSED_PAD src0_sel:DWORD src1_sel:WORD_1
	v_fma_f16 v38, v33, v20, -v38
	v_mul_f16_sdwa v33, v33, v20 dst_sel:DWORD dst_unused:UNUSED_PAD src0_sel:DWORD src1_sel:WORD_1
	v_fma_f16 v19, v19, v20, v33
	s_waitcnt lgkmcnt(0)
	v_lshrrev_b32_e32 v20, 16, v17
	v_add_f16_e32 v33, v20, v29
	v_sub_f16_e32 v39, v29, v34
	v_add_f16_e32 v29, v29, v34
	v_fma_f16 v20, v29, -0.5, v20
	v_add_f16_e32 v29, v35, v21
	v_fma_f16 v29, v29, -0.5, v17
	v_add_f16_e32 v17, v17, v35
	v_add_f16_e32 v33, v33, v34
	;; [unrolled: 1-line block ×3, first 2 shown]
	v_sub_f16_e32 v21, v35, v21
	v_pack_b32_f16 v17, v17, v33
	v_fma_f16 v24, v39, s0, v29
	v_fma_f16 v33, v21, s1, v20
	v_pack_b32_f16 v24, v24, v33
	s_barrier
	ds_write2_b32 v23, v17, v24 offset1:18
	v_fma_f16 v17, v39, s1, v29
	v_fma_f16 v20, v21, s0, v20
	v_pack_b32_f16 v17, v17, v20
	ds_write_b32 v23, v17 offset:144
	v_add_f16_e32 v17, v11, v37
	v_fma_f16 v17, v17, -0.5, v30
	v_sub_f16_e32 v20, v36, v18
	v_fma_f16 v21, v20, s0, v17
	v_fma_f16 v17, v20, s1, v17
	v_lshrrev_b32_e32 v20, 16, v30
	v_add_f16_e32 v23, v20, v36
	v_add_f16_e32 v23, v23, v18
	;; [unrolled: 1-line block ×3, first 2 shown]
	v_fma_f16 v18, v18, -0.5, v20
	v_add_f16_e32 v20, v30, v11
	v_sub_f16_e32 v11, v11, v37
	v_fma_f16 v24, v11, s1, v18
	v_fma_f16 v11, v11, s0, v18
	v_add_f16_e32 v18, v22, v38
	v_fma_f16 v18, v18, -0.5, v32
	v_sub_f16_e32 v29, v12, v19
	v_fma_f16 v30, v29, s0, v18
	v_fma_f16 v18, v29, s1, v18
	v_lshrrev_b32_e32 v29, 16, v32
	v_add_f16_e32 v33, v29, v12
	v_add_f16_e32 v12, v12, v19
	;; [unrolled: 1-line block ×3, first 2 shown]
	v_fma_f16 v12, v12, -0.5, v29
	v_add_f16_e32 v19, v32, v22
	v_sub_f16_e32 v22, v22, v38
	v_add_f16_e32 v20, v20, v37
	v_fma_f16 v29, v22, s1, v12
	v_fma_f16 v12, v22, s0, v12
	v_lshlrev_b32_sdwa v22, v31, v25 dst_sel:DWORD dst_unused:UNUSED_PAD src0_sel:DWORD src1_sel:BYTE_0
	v_add3_u32 v13, 0, v13, v22
	v_pack_b32_f16 v20, v20, v23
	v_pack_b32_f16 v21, v21, v24
	;; [unrolled: 1-line block ×3, first 2 shown]
	v_add_f16_e32 v19, v19, v38
	ds_write2_b32 v13, v20, v21 offset1:18
	ds_write_b32 v13, v11 offset:144
	v_mul_u32_u24_e32 v11, 0xd8, v27
	v_lshlrev_b32_e32 v13, 2, v28
	v_add3_u32 v11, 0, v11, v13
	v_pack_b32_f16 v13, v19, v33
	v_pack_b32_f16 v17, v30, v29
	ds_write2_b32 v11, v13, v17 offset1:18
	v_pack_b32_f16 v12, v18, v12
	v_mov_b32_e32 v13, 19
	ds_write_b32 v11, v12 offset:144
	v_mul_lo_u16_sdwa v11, v14, v13 dst_sel:DWORD dst_unused:UNUSED_PAD src0_sel:BYTE_0 src1_sel:DWORD
	v_lshrrev_b16_e32 v21, 10, v11
	v_mul_lo_u16_e32 v11, 54, v21
	v_sub_u16_e32 v22, v14, v11
	v_lshlrev_b32_sdwa v11, v26, v22 dst_sel:DWORD dst_unused:UNUSED_PAD src0_sel:DWORD src1_sel:BYTE_0
	s_waitcnt lgkmcnt(0)
	s_barrier
	global_load_dwordx2 v[11:12], v11, s[8:9] offset:208
	v_mul_lo_u16_sdwa v13, v16, v13 dst_sel:DWORD dst_unused:UNUSED_PAD src0_sel:BYTE_0 src1_sel:DWORD
	v_lshrrev_b16_e32 v13, 10, v13
	v_mul_lo_u16_e32 v17, 54, v13
	v_sub_u16_e32 v23, v16, v17
	v_lshlrev_b32_sdwa v17, v26, v23 dst_sel:DWORD dst_unused:UNUSED_PAD src0_sel:DWORD src1_sel:BYTE_0
	global_load_dwordx2 v[17:18], v17, s[8:9] offset:208
	v_lshrrev_b16_e32 v19, 1, v7
	v_mul_u32_u24_e32 v19, 0x97b5, v19
	v_lshrrev_b32_e32 v24, 20, v19
	v_mul_lo_u16_e32 v19, 54, v24
	v_sub_u16_e32 v25, v7, v19
	v_lshlrev_b32_e32 v7, 3, v25
	global_load_dwordx2 v[19:20], v7, s[8:9] offset:208
	ds_read_b32 v5, v5
	ds_read_b32 v26, v8
	;; [unrolled: 1-line block ×3, first 2 shown]
	ds_read_b32 v27, v15 offset:4032
	ds_read2_b32 v[7:8], v10 offset0:116 offset1:242
	s_waitcnt lgkmcnt(4)
	v_lshrrev_b32_e32 v28, 16, v5
	s_waitcnt lgkmcnt(0)
	v_lshrrev_b32_e32 v30, 16, v8
	s_waitcnt vmcnt(2)
	v_mul_f16_sdwa v29, v11, v28 dst_sel:DWORD dst_unused:UNUSED_PAD src0_sel:WORD_1 src1_sel:DWORD
	v_fma_f16 v29, v11, v5, -v29
	v_mul_f16_sdwa v5, v11, v5 dst_sel:DWORD dst_unused:UNUSED_PAD src0_sel:WORD_1 src1_sel:DWORD
	v_fma_f16 v5, v11, v28, v5
	v_lshrrev_b32_e32 v11, 16, v7
	v_mul_f16_sdwa v28, v12, v7 dst_sel:DWORD dst_unused:UNUSED_PAD src0_sel:WORD_1 src1_sel:DWORD
	v_fma_f16 v28, v12, v11, v28
	v_mul_f16_sdwa v11, v12, v11 dst_sel:DWORD dst_unused:UNUSED_PAD src0_sel:WORD_1 src1_sel:DWORD
	v_fma_f16 v7, v12, v7, -v11
	ds_read2_b32 v[11:12], v2 offset0:120 offset1:246
	s_waitcnt vmcnt(1)
	v_mul_f16_sdwa v2, v18, v30 dst_sel:DWORD dst_unused:UNUSED_PAD src0_sel:WORD_1 src1_sel:DWORD
	v_fma_f16 v2, v18, v8, -v2
	v_mul_f16_sdwa v8, v18, v8 dst_sel:DWORD dst_unused:UNUSED_PAD src0_sel:WORD_1 src1_sel:DWORD
	v_fma_f16 v8, v18, v30, v8
	s_waitcnt lgkmcnt(0)
	v_lshrrev_b32_e32 v18, 16, v11
	v_mul_f16_sdwa v30, v17, v11 dst_sel:DWORD dst_unused:UNUSED_PAD src0_sel:WORD_1 src1_sel:DWORD
	v_fma_f16 v30, v17, v18, v30
	v_mul_f16_sdwa v18, v17, v18 dst_sel:DWORD dst_unused:UNUSED_PAD src0_sel:WORD_1 src1_sel:DWORD
	v_fma_f16 v11, v17, v11, -v18
	v_lshrrev_b32_e32 v17, 16, v12
	s_waitcnt vmcnt(0)
	v_mul_f16_sdwa v18, v19, v17 dst_sel:DWORD dst_unused:UNUSED_PAD src0_sel:WORD_1 src1_sel:DWORD
	v_fma_f16 v18, v19, v12, -v18
	v_mul_f16_sdwa v12, v19, v12 dst_sel:DWORD dst_unused:UNUSED_PAD src0_sel:WORD_1 src1_sel:DWORD
	v_fma_f16 v12, v19, v17, v12
	ds_read_b32 v17, v15
	v_lshrrev_b32_e32 v19, 16, v27
	v_mul_f16_sdwa v32, v19, v20 dst_sel:DWORD dst_unused:UNUSED_PAD src0_sel:DWORD src1_sel:WORD_1
	v_fma_f16 v32, v27, v20, -v32
	v_mul_f16_sdwa v27, v27, v20 dst_sel:DWORD dst_unused:UNUSED_PAD src0_sel:DWORD src1_sel:WORD_1
	v_fma_f16 v19, v19, v20, v27
	v_add_f16_e32 v20, v29, v7
	s_waitcnt lgkmcnt(0)
	v_fma_f16 v20, v20, -0.5, v17
	v_sub_f16_e32 v27, v5, v28
	v_fma_f16 v33, v27, s0, v20
	v_fma_f16 v20, v27, s1, v20
	v_lshrrev_b32_e32 v27, 16, v17
	v_add_f16_e32 v34, v27, v5
	v_add_f16_e32 v5, v5, v28
	;; [unrolled: 1-line block ×3, first 2 shown]
	v_fma_f16 v5, v5, -0.5, v27
	v_add_f16_e32 v17, v17, v7
	v_sub_f16_e32 v7, v29, v7
	v_add_f16_e32 v34, v34, v28
	v_fma_f16 v27, v7, s1, v5
	v_fma_f16 v5, v7, s0, v5
	v_mul_u32_u24_e32 v7, 0x288, v21
	v_lshlrev_b32_sdwa v21, v31, v22 dst_sel:DWORD dst_unused:UNUSED_PAD src0_sel:DWORD src1_sel:BYTE_0
	v_add3_u32 v7, 0, v7, v21
	v_pack_b32_f16 v17, v17, v34
	v_pack_b32_f16 v21, v33, v27
	s_barrier
	ds_write2_b32 v7, v17, v21 offset1:54
	v_add_f16_e32 v17, v11, v2
	v_fma_f16 v17, v17, -0.5, v26
	v_sub_f16_e32 v21, v30, v8
	v_fma_f16 v22, v21, s0, v17
	v_fma_f16 v21, v21, s1, v17
	v_lshrrev_b32_e32 v17, 16, v26
	v_add_f16_e32 v27, v17, v30
	v_add_f16_e32 v27, v27, v8
	;; [unrolled: 1-line block ×3, first 2 shown]
	v_fma_f16 v8, v8, -0.5, v17
	v_add_f16_e32 v17, v26, v11
	v_add_f16_e32 v26, v17, v2
	v_sub_f16_e32 v2, v11, v2
	v_fma_f16 v11, v2, s1, v8
	v_fma_f16 v8, v2, s0, v8
	v_add_f16_e32 v2, v18, v32
	v_fma_f16 v17, v2, -0.5, v9
	v_sub_f16_e32 v28, v12, v19
	v_pack_b32_f16 v5, v20, v5
	v_fma_f16 v2, v28, s1, v17
	v_fma_f16 v17, v28, s0, v17
	v_lshrrev_b32_e32 v28, 16, v9
	ds_write_b32 v7, v5 offset:432
	v_mul_u32_u24_e32 v5, 0x288, v13
	v_lshlrev_b32_sdwa v7, v31, v23 dst_sel:DWORD dst_unused:UNUSED_PAD src0_sel:DWORD src1_sel:BYTE_0
	v_add_f16_e32 v29, v28, v12
	v_add_f16_e32 v12, v12, v19
	v_add3_u32 v5, 0, v5, v7
	v_pack_b32_f16 v7, v26, v27
	v_pack_b32_f16 v11, v22, v11
	v_add_f16_e32 v29, v29, v19
	v_fma_f16 v12, v12, -0.5, v28
	v_add_f16_e32 v9, v9, v18
	v_sub_f16_e32 v19, v18, v32
	ds_write2_b32 v5, v7, v11 offset1:54
	v_pack_b32_f16 v7, v21, v8
	v_add_f16_e32 v9, v9, v32
	v_fma_f16 v18, v19, s1, v12
	ds_write_b32 v5, v7 offset:432
	v_mul_u32_u24_e32 v5, 0x288, v24
	v_lshlrev_b32_e32 v7, 2, v25
	v_fma_f16 v19, v19, s0, v12
	v_add3_u32 v5, 0, v5, v7
	v_pack_b32_f16 v7, v9, v29
	v_pack_b32_f16 v8, v17, v18
	ds_write2_b32 v5, v7, v8 offset1:54
	v_pack_b32_f16 v7, v2, v19
	v_add_u32_e32 v25, 0x400, v15
	ds_write_b32 v5, v7 offset:432
	s_waitcnt lgkmcnt(0)
	s_barrier
	ds_read2_b32 v[8:9], v15 offset1:162
	ds_read2_b32 v[12:13], v25 offset0:68 offset1:230
	ds_read2_b32 v[10:11], v10 offset0:8 offset1:170
	ds_read_b32 v26, v15 offset:3888
	v_cmp_gt_u32_e64 s[0:1], 36, v14
	v_lshrrev_b32_e32 v20, 16, v3
                                        ; implicit-def: $vgpr21
                                        ; implicit-def: $vgpr5
                                        ; implicit-def: $vgpr24
                                        ; implicit-def: $vgpr7
                                        ; implicit-def: $vgpr22
                                        ; implicit-def: $vgpr23
	s_and_saveexec_b64 s[4:5], s[0:1]
	s_cbranch_execz .LBB0_17
; %bb.16:
	v_sub_u32_e32 v2, 0, v4
	v_add_u32_e32 v2, v6, v2
	ds_read_b32 v17, v2
	ds_read_u16 v20, v15 offset:1802
	v_add_u32_e32 v2, 0x900, v15
	ds_read2_b32 v[4:5], v2 offset0:36 offset1:198
	v_add_u32_e32 v2, 0xe00, v15
	ds_read2_b32 v[6:7], v2 offset0:40 offset1:202
	ds_read2_b32 v[2:3], v25 offset0:32 offset1:194
	s_waitcnt lgkmcnt(4)
	v_lshrrev_b32_e32 v18, 16, v17
	s_waitcnt lgkmcnt(2)
	v_lshrrev_b32_e32 v23, 16, v4
	v_lshrrev_b32_e32 v21, 16, v5
	s_waitcnt lgkmcnt(1)
	v_lshrrev_b32_e32 v22, 16, v6
	;; [unrolled: 3-line block ×3, first 2 shown]
.LBB0_17:
	s_or_b64 exec, exec, s[4:5]
	v_mul_u32_u24_e32 v27, 6, v14
	v_lshlrev_b32_e32 v33, 2, v27
	global_load_dwordx4 v[27:30], v33, s[8:9] offset:640
	global_load_dwordx2 v[31:32], v33, s[8:9] offset:656
	s_waitcnt lgkmcnt(0)
	v_lshrrev_b32_e32 v33, 16, v26
	v_lshrrev_b32_e32 v34, 16, v11
	;; [unrolled: 1-line block ×6, first 2 shown]
	s_movk_i32 s10, 0x2b26
	s_mov_b32 s11, 0xbcab
	s_movk_i32 s7, 0x39e0
	s_mov_b32 s14, 0xb9e0
	s_movk_i32 s17, 0x3574
	s_movk_i32 s6, 0x3b00
	s_mov_b32 s15, 0xb574
	s_movk_i32 s16, 0x370e
	s_waitcnt vmcnt(0)
	s_barrier
	v_mul_f16_sdwa v39, v27, v38 dst_sel:DWORD dst_unused:UNUSED_PAD src0_sel:WORD_1 src1_sel:DWORD
	v_mul_f16_sdwa v40, v27, v9 dst_sel:DWORD dst_unused:UNUSED_PAD src0_sel:WORD_1 src1_sel:DWORD
	;; [unrolled: 1-line block ×12, first 2 shown]
	v_fma_f16 v9, v27, v9, -v39
	v_fma_f16 v27, v27, v38, v40
	v_fma_f16 v12, v28, v12, -v41
	v_fma_f16 v28, v28, v37, v42
	;; [unrolled: 2-line block ×6, first 2 shown]
	v_add_f16_e32 v33, v9, v26
	v_add_f16_e32 v34, v27, v32
	v_sub_f16_e32 v9, v9, v26
	v_sub_f16_e32 v26, v27, v32
	v_add_f16_e32 v27, v12, v11
	v_add_f16_e32 v32, v28, v31
	v_sub_f16_e32 v11, v12, v11
	v_sub_f16_e32 v12, v28, v31
	;; [unrolled: 4-line block ×4, first 2 shown]
	v_sub_f16_e32 v33, v33, v28
	v_sub_f16_e32 v34, v34, v31
	;; [unrolled: 1-line block ×4, first 2 shown]
	v_add_f16_e32 v37, v10, v11
	v_add_f16_e32 v38, v13, v12
	v_sub_f16_e32 v39, v10, v11
	v_sub_f16_e32 v40, v13, v12
	v_add_f16_e32 v28, v28, v29
	v_add_f16_e32 v29, v31, v30
	v_sub_f16_e32 v10, v9, v10
	v_sub_f16_e32 v13, v26, v13
	;; [unrolled: 1-line block ×4, first 2 shown]
	v_add_f16_e32 v9, v37, v9
	v_add_f16_e32 v26, v38, v26
	v_mul_f16_e32 v30, 0x3a52, v33
	v_mul_f16_e32 v31, 0x3a52, v34
	;; [unrolled: 1-line block ×6, first 2 shown]
	v_add_f16_e32 v41, v28, v8
	v_add_f16_sdwa v8, v29, v8 dst_sel:DWORD dst_unused:UNUSED_PAD src0_sel:DWORD src1_sel:WORD_1
	v_mul_f16_e32 v39, 0x3b00, v11
	v_mul_f16_e32 v40, 0x3b00, v12
	v_fma_f16 v27, v27, s10, v30
	v_fma_f16 v32, v32, s10, v31
	v_fma_f16 v33, v35, s7, -v33
	v_fma_f16 v34, v36, s7, -v34
	;; [unrolled: 1-line block ×4, first 2 shown]
	v_fma_f16 v28, v28, s11, v41
	v_fma_f16 v29, v29, s11, v8
	;; [unrolled: 1-line block ×4, first 2 shown]
	v_fma_f16 v11, v11, s6, -v37
	v_fma_f16 v12, v12, s6, -v38
	;; [unrolled: 1-line block ×4, first 2 shown]
	v_add_f16_e32 v27, v27, v28
	v_add_f16_e32 v32, v32, v29
	;; [unrolled: 1-line block ×6, first 2 shown]
	v_fma_f16 v30, v9, s16, v35
	v_fma_f16 v31, v26, s16, v36
	;; [unrolled: 1-line block ×6, first 2 shown]
	v_add_f16_e32 v13, v31, v27
	v_sub_f16_e32 v26, v32, v30
	v_add_f16_e32 v35, v10, v28
	v_sub_f16_e32 v36, v29, v9
	v_sub_f16_e32 v37, v33, v12
	v_add_f16_e32 v38, v11, v34
	v_pack_b32_f16 v8, v41, v8
	v_pack_b32_f16 v13, v13, v26
	v_add_f16_e32 v12, v12, v33
	v_sub_f16_e32 v11, v34, v11
	v_sub_f16_e32 v10, v28, v10
	v_add_f16_e32 v9, v9, v29
	ds_write2_b32 v15, v8, v13 offset1:162
	v_pack_b32_f16 v8, v35, v36
	v_pack_b32_f16 v13, v37, v38
	v_sub_f16_e32 v27, v27, v31
	v_add_f16_e32 v28, v30, v32
	ds_write2_b32 v25, v8, v13 offset0:68 offset1:230
	v_pack_b32_f16 v8, v12, v11
	v_pack_b32_f16 v9, v10, v9
	v_add_u32_e32 v10, 0xa00, v15
	ds_write2_b32 v10, v8, v9 offset0:8 offset1:170
	v_pack_b32_f16 v8, v27, v28
	ds_write_b32 v15, v8 offset:3888
	s_and_saveexec_b64 s[4:5], s[0:1]
	s_cbranch_execz .LBB0_19
; %bb.18:
	v_subrev_u32_e32 v8, 36, v14
	v_cndmask_b32_e64 v8, v8, v16, s[0:1]
	v_mul_i32_i24_e32 v8, 6, v8
	v_mov_b32_e32 v9, 0
	v_lshlrev_b64 v[8:9], 2, v[8:9]
	v_mov_b32_e32 v10, s9
	v_add_co_u32_e64 v12, s[0:1], s8, v8
	v_addc_co_u32_e64 v13, s[0:1], v10, v9, s[0:1]
	global_load_dwordx4 v[8:11], v[12:13], off offset:640
	global_load_dwordx2 v[25:26], v[12:13], off offset:656
	s_waitcnt vmcnt(1)
	v_mul_f16_sdwa v12, v19, v8 dst_sel:DWORD dst_unused:UNUSED_PAD src0_sel:DWORD src1_sel:WORD_1
	s_waitcnt vmcnt(0)
	v_mul_f16_sdwa v13, v24, v26 dst_sel:DWORD dst_unused:UNUSED_PAD src0_sel:DWORD src1_sel:WORD_1
	v_mul_f16_sdwa v16, v21, v11 dst_sel:DWORD dst_unused:UNUSED_PAD src0_sel:DWORD src1_sel:WORD_1
	;; [unrolled: 1-line block ×11, first 2 shown]
	v_fma_f16 v2, v2, v8, -v12
	v_fma_f16 v7, v7, v26, -v13
	;; [unrolled: 1-line block ×6, first 2 shown]
	v_fma_f16 v12, v24, v26, v30
	v_fma_f16 v8, v19, v8, v31
	;; [unrolled: 1-line block ×6, first 2 shown]
	v_sub_f16_e32 v16, v2, v7
	v_sub_f16_e32 v19, v5, v4
	;; [unrolled: 1-line block ×3, first 2 shown]
	v_add_f16_e32 v21, v8, v12
	v_add_f16_e32 v23, v9, v13
	;; [unrolled: 1-line block ×5, first 2 shown]
	v_sub_f16_e32 v5, v8, v12
	v_sub_f16_e32 v6, v11, v10
	;; [unrolled: 1-line block ×3, first 2 shown]
	v_add_f16_e32 v22, v10, v11
	v_add_f16_e32 v13, v23, v21
	;; [unrolled: 1-line block ×3, first 2 shown]
	v_sub_f16_e32 v26, v5, v6
	v_sub_f16_e32 v27, v6, v7
	v_add_f16_e32 v6, v6, v7
	v_sub_f16_e32 v8, v16, v19
	v_sub_f16_e32 v9, v19, v20
	v_add_f16_e32 v10, v19, v20
	v_sub_f16_e32 v11, v21, v22
	v_sub_f16_e32 v12, v22, v23
	;; [unrolled: 1-line block ×5, first 2 shown]
	v_add_f16_e32 v13, v22, v13
	v_add_f16_e32 v4, v4, v25
	;; [unrolled: 1-line block ×3, first 2 shown]
	v_sub_f16_e32 v5, v7, v5
	v_sub_f16_e32 v21, v23, v21
	;; [unrolled: 1-line block ×3, first 2 shown]
	v_mul_f16_e32 v3, 0xb846, v9
	v_add_f16_e32 v9, v10, v16
	v_mul_f16_e32 v10, 0x3a52, v11
	v_mul_f16_e32 v11, 0x2b26, v12
	;; [unrolled: 1-line block ×6, first 2 shown]
	v_add_f16_e32 v18, v18, v13
	v_add_f16_e32 v17, v17, v4
	v_mul_f16_e32 v7, 0x3b00, v5
	v_fma_f16 v25, v8, s17, v3
	v_fma_f16 v12, v12, s10, v10
	;; [unrolled: 1-line block ×3, first 2 shown]
	v_fma_f16 v8, v8, s15, -v23
	v_fma_f16 v10, v21, s14, -v10
	;; [unrolled: 1-line block ×3, first 2 shown]
	v_fma_f16 v13, v13, s11, v18
	v_fma_f16 v4, v4, s11, v17
	v_fma_f16 v7, v26, s15, -v7
	v_fma_f16 v11, v21, s7, -v11
	;; [unrolled: 1-line block ×5, first 2 shown]
	v_fma_f16 v27, v26, s17, v22
	v_fma_f16 v8, v9, s16, v8
	v_add_f16_e32 v10, v10, v13
	v_add_f16_e32 v16, v16, v4
	v_fma_f16 v7, v6, s16, v7
	v_add_f16_e32 v11, v11, v13
	v_fma_f16 v3, v9, s16, v3
	v_fma_f16 v5, v6, s16, v5
	v_add_f16_e32 v2, v2, v4
	v_fma_f16 v23, v9, s16, v25
	v_fma_f16 v25, v6, s16, v27
	v_add_f16_e32 v24, v24, v4
	v_sub_f16_e32 v9, v11, v3
	v_add_f16_e32 v4, v5, v2
	v_add_f16_e32 v3, v3, v11
	v_sub_f16_e32 v2, v2, v5
	v_sub_f16_e32 v5, v10, v8
	v_add_f16_e32 v6, v7, v16
	v_add_f16_e32 v12, v12, v13
	;; [unrolled: 1-line block ×3, first 2 shown]
	v_sub_f16_e32 v26, v16, v7
	v_pack_b32_f16 v5, v6, v5
	v_pack_b32_f16 v2, v2, v3
	v_add_u32_e32 v3, 0x600, v15
	v_add_f16_e32 v27, v23, v12
	v_sub_f16_e32 v28, v24, v25
	v_sub_f16_e32 v7, v12, v23
	v_add_f16_e32 v8, v25, v24
	ds_write2_b32 v3, v5, v2 offset0:66 offset1:228
	v_pack_b32_f16 v2, v4, v9
	v_pack_b32_f16 v3, v26, v29
	v_add_u32_e32 v4, 0xc00, v15
	v_pack_b32_f16 v10, v17, v18
	v_pack_b32_f16 v7, v8, v7
	v_add_u32_e32 v8, 0x100, v15
	ds_write2_b32 v4, v2, v3 offset0:6 offset1:168
	v_pack_b32_f16 v2, v28, v27
	ds_write2_b32 v8, v10, v7 offset0:62 offset1:224
	ds_write_b32 v15, v2 offset:4392
.LBB0_19:
	s_or_b64 exec, exec, s[4:5]
	s_waitcnt lgkmcnt(0)
	s_barrier
	s_and_saveexec_b64 s[0:1], vcc
	s_cbranch_execz .LBB0_21
; %bb.20:
	v_mad_u64_u32 v[2:3], s[0:1], s2, v14, 0
	v_mov_b32_e32 v6, s13
	v_add_co_u32_e32 v9, vcc, s12, v0
	v_mad_u64_u32 v[3:4], s[0:1], s3, v14, v[3:4]
	ds_read2_b32 v[4:5], v15 offset1:126
	v_addc_co_u32_e32 v10, vcc, v6, v1, vcc
	v_add_u32_e32 v6, 0x7e, v14
	v_lshlrev_b64 v[0:1], 2, v[2:3]
	v_mad_u64_u32 v[2:3], s[0:1], s2, v6, 0
	v_add_u32_e32 v11, 0xfc, v14
	v_add_co_u32_e32 v0, vcc, v9, v0
	s_waitcnt lgkmcnt(0)
	v_mad_u64_u32 v[6:7], s[0:1], s3, v6, v[3:4]
	v_mad_u64_u32 v[7:8], s[0:1], s2, v11, 0
	v_addc_co_u32_e32 v1, vcc, v10, v1, vcc
	v_mov_b32_e32 v3, v6
	global_store_dword v[0:1], v4, off
	v_lshlrev_b64 v[0:1], 2, v[2:3]
	v_mov_b32_e32 v2, v8
	v_add_co_u32_e32 v0, vcc, v9, v0
	v_mad_u64_u32 v[2:3], s[0:1], s3, v11, v[2:3]
	v_addc_co_u32_e32 v1, vcc, v10, v1, vcc
	v_add_u32_e32 v6, 0x17a, v14
	global_store_dword v[0:1], v5, off
	v_mad_u64_u32 v[4:5], s[0:1], s2, v6, 0
	v_mov_b32_e32 v8, v2
	v_add_u32_e32 v0, 0x200, v15
	ds_read2_b32 v[0:1], v0 offset0:124 offset1:250
	v_lshlrev_b64 v[2:3], 2, v[7:8]
	v_mad_u64_u32 v[5:6], s[0:1], s3, v6, v[5:6]
	v_add_u32_e32 v8, 0x1f8, v14
	v_mad_u64_u32 v[6:7], s[0:1], s2, v8, 0
	v_add_co_u32_e32 v2, vcc, v9, v2
	v_addc_co_u32_e32 v3, vcc, v10, v3, vcc
	s_waitcnt lgkmcnt(0)
	global_store_dword v[2:3], v0, off
	v_mov_b32_e32 v0, v7
	v_lshlrev_b64 v[2:3], 2, v[4:5]
	v_mad_u64_u32 v[4:5], s[0:1], s3, v8, v[0:1]
	v_add_co_u32_e32 v2, vcc, v9, v2
	v_addc_co_u32_e32 v3, vcc, v10, v3, vcc
	v_mov_b32_e32 v7, v4
	global_store_dword v[2:3], v1, off
	v_lshlrev_b64 v[2:3], 2, v[6:7]
	v_add_u32_e32 v6, 0x276, v14
	v_mad_u64_u32 v[4:5], s[0:1], s2, v6, 0
	v_add_u32_e32 v0, 0x600, v15
	ds_read2_b32 v[0:1], v0 offset0:120 offset1:246
	v_mad_u64_u32 v[5:6], s[0:1], s3, v6, v[5:6]
	v_add_u32_e32 v8, 0x2f4, v14
	v_mad_u64_u32 v[6:7], s[0:1], s2, v8, 0
	v_add_co_u32_e32 v2, vcc, v9, v2
	v_addc_co_u32_e32 v3, vcc, v10, v3, vcc
	s_waitcnt lgkmcnt(0)
	global_store_dword v[2:3], v0, off
	v_mov_b32_e32 v0, v7
	v_lshlrev_b64 v[2:3], 2, v[4:5]
	v_mad_u64_u32 v[4:5], s[0:1], s3, v8, v[0:1]
	v_add_co_u32_e32 v2, vcc, v9, v2
	v_addc_co_u32_e32 v3, vcc, v10, v3, vcc
	v_mov_b32_e32 v7, v4
	global_store_dword v[2:3], v1, off
	v_lshlrev_b64 v[2:3], 2, v[6:7]
	v_add_u32_e32 v6, 0x372, v14
	v_mad_u64_u32 v[4:5], s[0:1], s2, v6, 0
	v_add_u32_e32 v0, 0xa00, v15
	ds_read2_b32 v[0:1], v0 offset0:116 offset1:242
	v_mad_u64_u32 v[5:6], s[0:1], s3, v6, v[5:6]
	v_add_u32_e32 v8, 0x3f0, v14
	v_mad_u64_u32 v[6:7], s[0:1], s2, v8, 0
	v_add_co_u32_e32 v2, vcc, v9, v2
	v_addc_co_u32_e32 v3, vcc, v10, v3, vcc
	s_waitcnt lgkmcnt(0)
	global_store_dword v[2:3], v0, off
	v_mov_b32_e32 v0, v7
	v_lshlrev_b64 v[2:3], 2, v[4:5]
	v_mad_u64_u32 v[4:5], s[0:1], s3, v8, v[0:1]
	v_add_co_u32_e32 v2, vcc, v9, v2
	v_addc_co_u32_e32 v3, vcc, v10, v3, vcc
	global_store_dword v[2:3], v1, off
	v_mov_b32_e32 v7, v4
	ds_read_b32 v2, v15 offset:4032
	v_lshlrev_b64 v[0:1], 2, v[6:7]
	v_add_co_u32_e32 v0, vcc, v9, v0
	v_addc_co_u32_e32 v1, vcc, v10, v1, vcc
	s_waitcnt lgkmcnt(0)
	global_store_dword v[0:1], v2, off
.LBB0_21:
	s_endpgm
	.section	.rodata,"a",@progbits
	.p2align	6, 0x0
	.amdhsa_kernel fft_rtc_fwd_len1134_factors_2_3_3_3_3_7_wgs_126_tpt_126_half_ip_CI_sbrr_dirReg
		.amdhsa_group_segment_fixed_size 0
		.amdhsa_private_segment_fixed_size 0
		.amdhsa_kernarg_size 88
		.amdhsa_user_sgpr_count 6
		.amdhsa_user_sgpr_private_segment_buffer 1
		.amdhsa_user_sgpr_dispatch_ptr 0
		.amdhsa_user_sgpr_queue_ptr 0
		.amdhsa_user_sgpr_kernarg_segment_ptr 1
		.amdhsa_user_sgpr_dispatch_id 0
		.amdhsa_user_sgpr_flat_scratch_init 0
		.amdhsa_user_sgpr_private_segment_size 0
		.amdhsa_uses_dynamic_stack 0
		.amdhsa_system_sgpr_private_segment_wavefront_offset 0
		.amdhsa_system_sgpr_workgroup_id_x 1
		.amdhsa_system_sgpr_workgroup_id_y 0
		.amdhsa_system_sgpr_workgroup_id_z 0
		.amdhsa_system_sgpr_workgroup_info 0
		.amdhsa_system_vgpr_workitem_id 0
		.amdhsa_next_free_vgpr 51
		.amdhsa_next_free_sgpr 24
		.amdhsa_reserve_vcc 1
		.amdhsa_reserve_flat_scratch 0
		.amdhsa_float_round_mode_32 0
		.amdhsa_float_round_mode_16_64 0
		.amdhsa_float_denorm_mode_32 3
		.amdhsa_float_denorm_mode_16_64 3
		.amdhsa_dx10_clamp 1
		.amdhsa_ieee_mode 1
		.amdhsa_fp16_overflow 0
		.amdhsa_exception_fp_ieee_invalid_op 0
		.amdhsa_exception_fp_denorm_src 0
		.amdhsa_exception_fp_ieee_div_zero 0
		.amdhsa_exception_fp_ieee_overflow 0
		.amdhsa_exception_fp_ieee_underflow 0
		.amdhsa_exception_fp_ieee_inexact 0
		.amdhsa_exception_int_div_zero 0
	.end_amdhsa_kernel
	.text
.Lfunc_end0:
	.size	fft_rtc_fwd_len1134_factors_2_3_3_3_3_7_wgs_126_tpt_126_half_ip_CI_sbrr_dirReg, .Lfunc_end0-fft_rtc_fwd_len1134_factors_2_3_3_3_3_7_wgs_126_tpt_126_half_ip_CI_sbrr_dirReg
                                        ; -- End function
	.section	.AMDGPU.csdata,"",@progbits
; Kernel info:
; codeLenInByte = 7892
; NumSgprs: 28
; NumVgprs: 51
; ScratchSize: 0
; MemoryBound: 0
; FloatMode: 240
; IeeeMode: 1
; LDSByteSize: 0 bytes/workgroup (compile time only)
; SGPRBlocks: 3
; VGPRBlocks: 12
; NumSGPRsForWavesPerEU: 28
; NumVGPRsForWavesPerEU: 51
; Occupancy: 4
; WaveLimiterHint : 1
; COMPUTE_PGM_RSRC2:SCRATCH_EN: 0
; COMPUTE_PGM_RSRC2:USER_SGPR: 6
; COMPUTE_PGM_RSRC2:TRAP_HANDLER: 0
; COMPUTE_PGM_RSRC2:TGID_X_EN: 1
; COMPUTE_PGM_RSRC2:TGID_Y_EN: 0
; COMPUTE_PGM_RSRC2:TGID_Z_EN: 0
; COMPUTE_PGM_RSRC2:TIDIG_COMP_CNT: 0
	.type	__hip_cuid_bb47f00c2e3c8bea,@object ; @__hip_cuid_bb47f00c2e3c8bea
	.section	.bss,"aw",@nobits
	.globl	__hip_cuid_bb47f00c2e3c8bea
__hip_cuid_bb47f00c2e3c8bea:
	.byte	0                               ; 0x0
	.size	__hip_cuid_bb47f00c2e3c8bea, 1

	.ident	"AMD clang version 19.0.0git (https://github.com/RadeonOpenCompute/llvm-project roc-6.4.0 25133 c7fe45cf4b819c5991fe208aaa96edf142730f1d)"
	.section	".note.GNU-stack","",@progbits
	.addrsig
	.addrsig_sym __hip_cuid_bb47f00c2e3c8bea
	.amdgpu_metadata
---
amdhsa.kernels:
  - .args:
      - .actual_access:  read_only
        .address_space:  global
        .offset:         0
        .size:           8
        .value_kind:     global_buffer
      - .offset:         8
        .size:           8
        .value_kind:     by_value
      - .actual_access:  read_only
        .address_space:  global
        .offset:         16
        .size:           8
        .value_kind:     global_buffer
      - .actual_access:  read_only
        .address_space:  global
        .offset:         24
        .size:           8
        .value_kind:     global_buffer
      - .offset:         32
        .size:           8
        .value_kind:     by_value
      - .actual_access:  read_only
        .address_space:  global
        .offset:         40
        .size:           8
        .value_kind:     global_buffer
      - .actual_access:  read_only
        .address_space:  global
        .offset:         48
        .size:           8
        .value_kind:     global_buffer
      - .offset:         56
        .size:           4
        .value_kind:     by_value
      - .actual_access:  read_only
        .address_space:  global
        .offset:         64
        .size:           8
        .value_kind:     global_buffer
      - .actual_access:  read_only
        .address_space:  global
        .offset:         72
        .size:           8
        .value_kind:     global_buffer
      - .address_space:  global
        .offset:         80
        .size:           8
        .value_kind:     global_buffer
    .group_segment_fixed_size: 0
    .kernarg_segment_align: 8
    .kernarg_segment_size: 88
    .language:       OpenCL C
    .language_version:
      - 2
      - 0
    .max_flat_workgroup_size: 126
    .name:           fft_rtc_fwd_len1134_factors_2_3_3_3_3_7_wgs_126_tpt_126_half_ip_CI_sbrr_dirReg
    .private_segment_fixed_size: 0
    .sgpr_count:     28
    .sgpr_spill_count: 0
    .symbol:         fft_rtc_fwd_len1134_factors_2_3_3_3_3_7_wgs_126_tpt_126_half_ip_CI_sbrr_dirReg.kd
    .uniform_work_group_size: 1
    .uses_dynamic_stack: false
    .vgpr_count:     51
    .vgpr_spill_count: 0
    .wavefront_size: 64
amdhsa.target:   amdgcn-amd-amdhsa--gfx906
amdhsa.version:
  - 1
  - 2
...

	.end_amdgpu_metadata
